;; amdgpu-corpus repo=ROCm/rocFFT kind=compiled arch=gfx950 opt=O3
	.text
	.amdgcn_target "amdgcn-amd-amdhsa--gfx950"
	.amdhsa_code_object_version 6
	.protected	fft_rtc_back_len55_factors_5_11_wgs_253_tpt_11_sp_op_CI_CI_unitstride_sbrr_dirReg ; -- Begin function fft_rtc_back_len55_factors_5_11_wgs_253_tpt_11_sp_op_CI_CI_unitstride_sbrr_dirReg
	.globl	fft_rtc_back_len55_factors_5_11_wgs_253_tpt_11_sp_op_CI_CI_unitstride_sbrr_dirReg
	.p2align	8
	.type	fft_rtc_back_len55_factors_5_11_wgs_253_tpt_11_sp_op_CI_CI_unitstride_sbrr_dirReg,@function
fft_rtc_back_len55_factors_5_11_wgs_253_tpt_11_sp_op_CI_CI_unitstride_sbrr_dirReg: ; @fft_rtc_back_len55_factors_5_11_wgs_253_tpt_11_sp_op_CI_CI_unitstride_sbrr_dirReg
; %bb.0:
	s_load_dwordx4 s[4:7], s[0:1], 0x58
	s_load_dwordx4 s[8:11], s[0:1], 0x0
	;; [unrolled: 1-line block ×3, first 2 shown]
	v_mul_u32_u24_e32 v1, 0x1746, v0
	v_lshrrev_b32_e32 v2, 16, v1
	v_mad_u64_u32 v[2:3], s[2:3], s2, 23, v[2:3]
	v_mov_b32_e32 v6, 0
	v_mov_b32_e32 v3, v6
	s_waitcnt lgkmcnt(0)
	v_cmp_lt_u64_e64 s[2:3], s[10:11], 2
	v_mov_b64_e32 v[4:5], 0
	s_and_b64 vcc, exec, s[2:3]
	v_mov_b64_e32 v[12:13], v[4:5]
	v_mov_b64_e32 v[16:17], v[2:3]
	s_cbranch_vccnz .LBB0_8
; %bb.1:
	s_load_dwordx2 s[2:3], s[0:1], 0x10
	s_add_u32 s16, s14, 8
	s_addc_u32 s17, s15, 0
	s_add_u32 s18, s12, 8
	s_addc_u32 s19, s13, 0
	s_waitcnt lgkmcnt(0)
	s_add_u32 s20, s2, 8
	v_mov_b64_e32 v[4:5], 0
	s_addc_u32 s21, s3, 0
	s_mov_b64 s[22:23], 1
	v_mov_b64_e32 v[12:13], v[4:5]
	v_mov_b64_e32 v[8:9], v[2:3]
.LBB0_2:                                ; =>This Inner Loop Header: Depth=1
	s_load_dwordx2 s[24:25], s[20:21], 0x0
                                        ; implicit-def: $vgpr16_vgpr17
	s_waitcnt lgkmcnt(0)
	v_or_b32_e32 v7, s25, v9
	v_cmp_ne_u64_e32 vcc, 0, v[6:7]
	s_and_saveexec_b64 s[2:3], vcc
	s_xor_b64 s[26:27], exec, s[2:3]
	s_cbranch_execz .LBB0_4
; %bb.3:                                ;   in Loop: Header=BB0_2 Depth=1
	v_cvt_f32_u32_e32 v1, s24
	v_cvt_f32_u32_e32 v3, s25
	s_sub_u32 s2, 0, s24
	s_subb_u32 s3, 0, s25
	v_fmac_f32_e32 v1, 0x4f800000, v3
	v_rcp_f32_e32 v1, v1
	s_nop 0
	v_mul_f32_e32 v1, 0x5f7ffffc, v1
	v_mul_f32_e32 v3, 0x2f800000, v1
	v_trunc_f32_e32 v3, v3
	v_fmac_f32_e32 v1, 0xcf800000, v3
	v_cvt_u32_f32_e32 v3, v3
	v_cvt_u32_f32_e32 v1, v1
	v_mul_lo_u32 v7, s2, v3
	v_mul_hi_u32 v10, s2, v1
	v_mul_lo_u32 v11, s3, v1
	v_add_u32_e32 v7, v10, v7
	v_mul_lo_u32 v16, s2, v1
	v_add_u32_e32 v7, v7, v11
	v_mul_hi_u32 v10, v1, v16
	v_mul_hi_u32 v15, v1, v7
	v_mul_lo_u32 v14, v1, v7
	v_mov_b32_e32 v11, v6
	v_lshl_add_u64 v[10:11], v[10:11], 0, v[14:15]
	v_mul_hi_u32 v15, v3, v16
	v_mul_lo_u32 v16, v3, v16
	v_add_co_u32_e32 v10, vcc, v10, v16
	v_mul_hi_u32 v14, v3, v7
	s_nop 0
	v_addc_co_u32_e32 v10, vcc, v11, v15, vcc
	v_mov_b32_e32 v11, v6
	s_nop 0
	v_addc_co_u32_e32 v15, vcc, 0, v14, vcc
	v_mul_lo_u32 v14, v3, v7
	v_lshl_add_u64 v[10:11], v[10:11], 0, v[14:15]
	v_add_co_u32_e32 v1, vcc, v1, v10
	v_mul_hi_u32 v10, s2, v1
	s_nop 0
	v_addc_co_u32_e32 v3, vcc, v3, v11, vcc
	v_mul_lo_u32 v7, s2, v3
	v_add_u32_e32 v7, v10, v7
	v_mul_lo_u32 v10, s3, v1
	v_add_u32_e32 v7, v7, v10
	v_mul_lo_u32 v14, s2, v1
	v_mul_hi_u32 v17, v3, v14
	v_mul_lo_u32 v18, v3, v14
	v_mul_hi_u32 v11, v1, v7
	;; [unrolled: 2-line block ×3, first 2 shown]
	v_mov_b32_e32 v15, v6
	v_lshl_add_u64 v[10:11], v[14:15], 0, v[10:11]
	v_add_co_u32_e32 v10, vcc, v10, v18
	v_mul_hi_u32 v16, v3, v7
	s_nop 0
	v_addc_co_u32_e32 v10, vcc, v11, v17, vcc
	v_mul_lo_u32 v14, v3, v7
	s_nop 0
	v_addc_co_u32_e32 v15, vcc, 0, v16, vcc
	v_mov_b32_e32 v11, v6
	v_lshl_add_u64 v[10:11], v[10:11], 0, v[14:15]
	v_add_co_u32_e32 v1, vcc, v1, v10
	v_mul_hi_u32 v14, v8, v1
	s_nop 0
	v_addc_co_u32_e32 v3, vcc, v3, v11, vcc
	v_mad_u64_u32 v[10:11], s[2:3], v8, v3, 0
	v_mov_b32_e32 v15, v6
	v_lshl_add_u64 v[10:11], v[14:15], 0, v[10:11]
	v_mad_u64_u32 v[16:17], s[2:3], v9, v1, 0
	v_add_co_u32_e32 v1, vcc, v10, v16
	v_mad_u64_u32 v[14:15], s[2:3], v9, v3, 0
	s_nop 0
	v_addc_co_u32_e32 v10, vcc, v11, v17, vcc
	v_mov_b32_e32 v11, v6
	s_nop 0
	v_addc_co_u32_e32 v15, vcc, 0, v15, vcc
	v_lshl_add_u64 v[10:11], v[10:11], 0, v[14:15]
	v_mul_lo_u32 v1, s25, v10
	v_mul_lo_u32 v3, s24, v11
	v_mad_u64_u32 v[14:15], s[2:3], s24, v10, 0
	v_add3_u32 v1, v15, v3, v1
	v_sub_u32_e32 v3, v9, v1
	v_mov_b32_e32 v7, s25
	v_sub_co_u32_e32 v18, vcc, v8, v14
	v_lshl_add_u64 v[16:17], v[10:11], 0, 1
	s_nop 0
	v_subb_co_u32_e64 v3, s[2:3], v3, v7, vcc
	v_subrev_co_u32_e64 v7, s[2:3], s24, v18
	v_subb_co_u32_e32 v1, vcc, v9, v1, vcc
	s_nop 0
	v_subbrev_co_u32_e64 v3, s[2:3], 0, v3, s[2:3]
	v_cmp_le_u32_e64 s[2:3], s25, v3
	v_cmp_le_u32_e32 vcc, s25, v1
	s_nop 0
	v_cndmask_b32_e64 v14, 0, -1, s[2:3]
	v_cmp_le_u32_e64 s[2:3], s24, v7
	s_nop 1
	v_cndmask_b32_e64 v7, 0, -1, s[2:3]
	v_cmp_eq_u32_e64 s[2:3], s25, v3
	s_nop 1
	v_cndmask_b32_e64 v3, v14, v7, s[2:3]
	v_lshl_add_u64 v[14:15], v[10:11], 0, 2
	v_cmp_ne_u32_e64 s[2:3], 0, v3
	v_cndmask_b32_e64 v7, 0, -1, vcc
	v_cmp_le_u32_e32 vcc, s24, v18
	v_cndmask_b32_e64 v3, v17, v15, s[2:3]
	s_nop 0
	v_cndmask_b32_e64 v15, 0, -1, vcc
	v_cmp_eq_u32_e32 vcc, s25, v1
	s_nop 1
	v_cndmask_b32_e32 v1, v7, v15, vcc
	v_cmp_ne_u32_e32 vcc, 0, v1
	v_cndmask_b32_e64 v1, v16, v14, s[2:3]
	s_nop 0
	v_cndmask_b32_e32 v17, v11, v3, vcc
	v_cndmask_b32_e32 v16, v10, v1, vcc
.LBB0_4:                                ;   in Loop: Header=BB0_2 Depth=1
	s_andn2_saveexec_b64 s[2:3], s[26:27]
	s_cbranch_execz .LBB0_6
; %bb.5:                                ;   in Loop: Header=BB0_2 Depth=1
	v_cvt_f32_u32_e32 v1, s24
	s_sub_i32 s26, 0, s24
	v_mov_b32_e32 v17, v6
	v_rcp_iflag_f32_e32 v1, v1
	s_nop 0
	v_mul_f32_e32 v1, 0x4f7ffffe, v1
	v_cvt_u32_f32_e32 v1, v1
	v_mul_lo_u32 v3, s26, v1
	v_mul_hi_u32 v3, v1, v3
	v_add_u32_e32 v1, v1, v3
	v_mul_hi_u32 v1, v8, v1
	v_mul_lo_u32 v3, v1, s24
	v_sub_u32_e32 v3, v8, v3
	v_add_u32_e32 v7, 1, v1
	v_subrev_u32_e32 v10, s24, v3
	v_cmp_le_u32_e32 vcc, s24, v3
	s_nop 1
	v_cndmask_b32_e32 v3, v3, v10, vcc
	v_cndmask_b32_e32 v1, v1, v7, vcc
	v_add_u32_e32 v7, 1, v1
	v_cmp_le_u32_e32 vcc, s24, v3
	s_nop 1
	v_cndmask_b32_e32 v16, v1, v7, vcc
.LBB0_6:                                ;   in Loop: Header=BB0_2 Depth=1
	s_or_b64 exec, exec, s[2:3]
	v_mad_u64_u32 v[10:11], s[2:3], v16, s24, 0
	s_load_dwordx2 s[2:3], s[18:19], 0x0
	s_add_u32 s22, s22, 1
	v_mul_lo_u32 v1, v17, s24
	v_mul_lo_u32 v3, v16, s25
	s_load_dwordx2 s[24:25], s[16:17], 0x0
	s_addc_u32 s23, s23, 0
	v_add3_u32 v1, v11, v3, v1
	v_sub_co_u32_e32 v3, vcc, v8, v10
	s_add_u32 s16, s16, 8
	s_nop 0
	v_subb_co_u32_e32 v1, vcc, v9, v1, vcc
	s_addc_u32 s17, s17, 0
	s_waitcnt lgkmcnt(0)
	v_mul_lo_u32 v7, s2, v1
	v_mul_lo_u32 v8, s3, v3
	v_mad_u64_u32 v[4:5], s[2:3], s2, v3, v[4:5]
	s_add_u32 s18, s18, 8
	v_add3_u32 v5, v8, v5, v7
	s_addc_u32 s19, s19, 0
	v_mov_b64_e32 v[8:9], s[10:11]
	v_mul_lo_u32 v1, s24, v1
	v_mul_lo_u32 v7, s25, v3
	v_mad_u64_u32 v[12:13], s[2:3], s24, v3, v[12:13]
	s_add_u32 s20, s20, 8
	v_cmp_ge_u64_e32 vcc, s[22:23], v[8:9]
	v_add3_u32 v13, v7, v13, v1
	s_addc_u32 s21, s21, 0
	s_cbranch_vccnz .LBB0_8
; %bb.7:                                ;   in Loop: Header=BB0_2 Depth=1
	v_mov_b64_e32 v[8:9], v[16:17]
	s_branch .LBB0_2
.LBB0_8:
	s_load_dwordx2 s[0:1], s[0:1], 0x28
	s_lshl_b64 s[10:11], s[10:11], 3
	s_add_u32 s2, s14, s10
	s_addc_u32 s3, s15, s11
                                        ; implicit-def: $vgpr18
	s_waitcnt lgkmcnt(0)
	v_cmp_gt_u64_e32 vcc, s[0:1], v[16:17]
	v_cmp_le_u64_e64 s[0:1], s[0:1], v[16:17]
	s_and_saveexec_b64 s[14:15], s[0:1]
	s_xor_b64 s[0:1], exec, s[14:15]
; %bb.9:
	s_mov_b32 s14, 0x1745d175
	v_mul_hi_u32 v1, v0, s14
	v_mul_u32_u24_e32 v1, 11, v1
	v_sub_u32_e32 v18, v0, v1
                                        ; implicit-def: $vgpr0
                                        ; implicit-def: $vgpr4_vgpr5
; %bb.10:
	s_or_saveexec_b64 s[0:1], s[0:1]
                                        ; implicit-def: $vgpr6
                                        ; implicit-def: $vgpr8
                                        ; implicit-def: $vgpr20
                                        ; implicit-def: $vgpr22
                                        ; implicit-def: $vgpr10
	s_xor_b64 exec, exec, s[0:1]
	s_cbranch_execz .LBB0_12
; %bb.11:
	s_add_u32 s10, s12, s10
	s_addc_u32 s11, s13, s11
	s_load_dwordx2 s[10:11], s[10:11], 0x0
	s_mov_b32 s12, 0x1745d175
	s_waitcnt lgkmcnt(0)
	v_mul_lo_u32 v1, s11, v16
	v_mul_lo_u32 v3, s10, v17
	v_mad_u64_u32 v[6:7], s[10:11], s10, v16, 0
	v_add3_u32 v7, v7, v3, v1
	v_mul_hi_u32 v1, v0, s12
	v_mul_u32_u24_e32 v1, 11, v1
	v_sub_u32_e32 v18, v0, v1
	v_lshl_add_u64 v[0:1], v[6:7], 3, s[4:5]
	v_lshl_add_u64 v[0:1], v[4:5], 3, v[0:1]
	v_lshlrev_b32_e32 v4, 3, v18
	v_mov_b32_e32 v5, 0
	v_lshl_add_u64 v[0:1], v[0:1], 0, v[4:5]
	global_load_dwordx2 v[6:7], v[0:1], off
	global_load_dwordx2 v[8:9], v[0:1], off offset:88
	global_load_dwordx2 v[20:21], v[0:1], off offset:176
	;; [unrolled: 1-line block ×4, first 2 shown]
.LBB0_12:
	s_or_b64 exec, exec, s[0:1]
	s_mov_b32 s0, 0xb21642c9
	v_mul_hi_u32 v0, v2, s0
	v_lshrrev_b32_e32 v0, 4, v0
	v_mul_lo_u32 v0, v0, 23
	v_sub_u32_e32 v0, v2, v0
	s_waitcnt vmcnt(3)
	v_pk_add_f32 v[2:3], v[6:7], v[8:9]
	s_waitcnt vmcnt(2)
	v_pk_add_f32 v[4:5], v[8:9], v[20:21] neg_lo:[0,1] neg_hi:[0,1]
	s_waitcnt vmcnt(0)
	v_pk_add_f32 v[14:15], v[10:11], v[22:23] neg_lo:[0,1] neg_hi:[0,1]
	v_mul_u32_u24_e32 v0, 55, v0
	v_pk_add_f32 v[24:25], v[4:5], v[14:15]
	v_pk_add_f32 v[26:27], v[20:21], v[22:23] neg_lo:[0,1] neg_hi:[0,1]
	v_pk_add_f32 v[28:29], v[20:21], v[8:9] neg_lo:[0,1] neg_hi:[0,1]
	;; [unrolled: 1-line block ×3, first 2 shown]
	v_mov_b32_e32 v4, v5
	v_mov_b32_e32 v1, v20
	;; [unrolled: 1-line block ×5, first 2 shown]
	v_pk_add_f32 v[2:3], v[2:3], v[20:21]
	s_mov_b32 s0, 0x3e9e377a
	v_pk_add_f32 v[32:33], v[28:29], v[30:31]
	v_pk_add_f32 v[4:5], v[4:5], v[14:15]
	v_pk_add_f32 v[36:37], v[0:1], v[36:37] neg_lo:[0,1] neg_hi:[0,1]
	v_mov_b32_e32 v14, v29
	v_mov_b32_e32 v1, v8
	;; [unrolled: 1-line block ×5, first 2 shown]
	v_pk_add_f32 v[2:3], v[2:3], v[22:23]
	v_mov_b32_e32 v25, v27
	s_mov_b32 s1, 0x3f167918
	v_pk_add_f32 v[34:35], v[8:9], v[10:11] neg_lo:[0,1] neg_hi:[0,1]
	v_mov_b32_e32 v5, v37
	v_pk_add_f32 v[30:31], v[14:15], v[26:27]
	v_pk_add_f32 v[28:29], v[0:1], v[28:29] neg_lo:[0,1] neg_hi:[0,1]
	v_pk_add_f32 v[14:15], v[2:3], v[10:11]
	v_pk_add_f32 v[2:3], v[20:21], v[22:23]
	v_pk_mul_f32 v[24:25], v[24:25], s[0:1]
	v_mov_b32_e32 v33, v35
	v_pk_mul_f32 v[38:39], v[4:5], s[0:1]
	v_mov_b32_e32 v31, v29
	v_pk_fma_f32 v[2:3], v[2:3], 0.5, v[6:7] op_sel_hi:[1,0,1] neg_lo:[1,0,0] neg_hi:[1,0,0]
	v_mov_b32_e32 v28, v35
	s_mov_b32 s4, 0x3f737871
	v_pk_add_f32 v[8:9], v[8:9], v[10:11]
	s_load_dwordx2 s[2:3], s[2:3], 0x0
	v_pk_mul_f32 v[32:33], v[32:33], s[0:1]
	v_pk_mul_f32 v[40:41], v[30:31], s[0:1]
	v_pk_fma_f32 v[22:23], v[28:29], s[4:5], v[2:3] op_sel_hi:[1,0,1] neg_lo:[1,0,0] neg_hi:[1,0,0]
	v_pk_fma_f32 v[2:3], v[28:29], s[4:5], v[2:3] op_sel_hi:[1,0,1]
	v_mov_b32_e32 v34, v25
	v_mov_b32_e32 v35, v39
	v_pk_fma_f32 v[6:7], v[8:9], 0.5, v[6:7] op_sel_hi:[1,0,1] neg_lo:[1,0,0] neg_hi:[1,0,0]
	v_mov_b32_e32 v36, v27
	v_pk_add_f32 v[20:21], v[22:23], v[34:35] neg_lo:[0,1] neg_hi:[0,1]
	v_pk_fma_f32 v[28:29], v[4:5], s[0:1], v[2:3]
	v_pk_fma_f32 v[8:9], v[36:37], s[4:5], v[6:7] op_sel_hi:[1,0,1]
	v_pk_fma_f32 v[6:7], v[36:37], s[4:5], v[6:7] op_sel_hi:[1,0,1] neg_lo:[1,0,0] neg_hi:[1,0,0]
	v_mov_b32_e32 v10, v33
	v_mov_b32_e32 v11, v41
	;; [unrolled: 1-line block ×3, first 2 shown]
	v_pk_add_f32 v[26:27], v[8:9], v[10:11] neg_lo:[0,1] neg_hi:[0,1]
	v_pk_fma_f32 v[28:29], v[30:31], s[0:1], v[6:7]
	v_pk_add_f32 v[6:7], v[6:7], v[10:11]
	v_pk_fma_f32 v[8:9], v[30:31], s[0:1], v[8:9] neg_lo:[1,0,0] neg_hi:[1,0,0]
	v_pk_add_f32 v[2:3], v[2:3], v[34:35]
	v_pk_fma_f32 v[4:5], v[4:5], s[0:1], v[22:23] neg_lo:[1,0,0] neg_hi:[1,0,0]
	v_mad_u32_u24 v1, v18, 40, 0
	v_mov_b32_e32 v25, v38
	v_mov_b32_e32 v27, v29
	;; [unrolled: 1-line block ×5, first 2 shown]
	v_lshl_add_u32 v19, v0, 3, v1
	v_pk_add_f32 v[20:21], v[24:25], v[20:21]
	v_pk_add_f32 v[26:27], v[32:33], v[26:27]
	;; [unrolled: 1-line block ×4, first 2 shown]
	v_cmp_gt_u32_e64 s[0:1], 5, v18
	ds_write2_b64 v19, v[14:15], v[20:21] offset1:1
	ds_write2_b64 v19, v[26:27], v[28:29] offset0:2 offset1:3
	ds_write_b64 v19, v[10:11] offset:32
	s_waitcnt lgkmcnt(0)
	s_barrier
	s_waitcnt lgkmcnt(0)
                                        ; implicit-def: $vgpr23
                                        ; implicit-def: $vgpr3
                                        ; implicit-def: $vgpr24
                                        ; implicit-def: $vgpr6
	s_and_saveexec_b64 s[4:5], s[0:1]
	s_cbranch_execz .LBB0_14
; %bb.13:
	v_lshlrev_b32_e32 v0, 3, v0
	v_lshlrev_b32_e32 v2, 3, v18
	v_add3_u32 v2, 0, v0, v2
	ds_read_b64 v[14:15], v2
	v_lshlrev_b32_e32 v2, 5, v18
	v_sub_u32_e32 v1, v1, v2
	v_add_u32_e32 v19, v1, v0
	ds_read2_b64 v[30:33], v19 offset0:5 offset1:10
	ds_read2_b64 v[8:11], v19 offset0:15 offset1:20
	;; [unrolled: 1-line block ×4, first 2 shown]
	ds_read2_b32 v[22:23], v19 offset0:70 offset1:71
	ds_read_b64 v[24:25], v19 offset:400
	s_waitcnt lgkmcnt(4)
	v_mov_b32_e32 v29, v9
	v_mov_b32_e32 v28, v8
	;; [unrolled: 1-line block ×6, first 2 shown]
.LBB0_14:
	s_or_b64 exec, exec, s[4:5]
	v_cmp_gt_u32_e64 s[0:1], 5, v18
	s_and_b64 s[0:1], vcc, s[0:1]
	s_and_saveexec_b64 s[4:5], s[0:1]
	s_cbranch_execz .LBB0_16
; %bb.15:
	s_movk_i32 s0, 0xcd
	v_mul_lo_u16_sdwa v8, v18, s0 dst_sel:DWORD dst_unused:UNUSED_PAD src0_sel:BYTE_0 src1_sel:DWORD
	v_lshrrev_b16_e32 v8, 10, v8
	v_mul_lo_u16_e32 v8, 5, v8
	v_sub_u16_e32 v8, v18, v8
	v_mul_lo_u16_e32 v8, 10, v8
	v_and_b32_e32 v8, 0xfe, v8
	v_lshlrev_b32_e32 v8, 3, v8
	global_load_dwordx4 v[30:33], v8, s[8:9] offset:16
	global_load_dwordx4 v[34:37], v8, s[8:9]
	global_load_dwordx4 v[38:41], v8, s[8:9] offset:64
	global_load_dwordx4 v[42:45], v8, s[8:9] offset:48
	global_load_dwordx4 v[46:49], v8, s[8:9] offset:32
	v_mul_lo_u32 v51, s3, v16
	v_mul_lo_u32 v17, s2, v17
	v_mad_u64_u32 v[8:9], s[0:1], s2, v16, 0
	v_add3_u32 v9, v9, v17, v51
	v_lshl_add_u64 v[8:9], v[8:9], 3, s[6:7]
	v_mov_b32_e32 v19, 0
	v_mov_b32_e32 v54, v29
	v_lshl_add_u64 v[8:9], v[12:13], 3, v[8:9]
	s_waitcnt lgkmcnt(0)
	v_mov_b32_e32 v16, v25
	v_mov_b32_e32 v52, v11
	v_mov_b32_e32 v12, v21
	v_lshl_add_u64 v[8:9], v[18:19], 3, v[8:9]
	v_mov_b32_e32 v50, v27
	v_mov_b32_e32 v56, v27
	;; [unrolled: 1-line block ×4, first 2 shown]
	s_mov_b32 s4, 0xbf0a6770
	s_mov_b32 s2, 0x3f575c64
	;; [unrolled: 1-line block ×12, first 2 shown]
	s_waitcnt vmcnt(4)
	v_pk_mul_f32 v[18:19], v[54:55], v[30:31] op_sel_hi:[0,1]
	v_pk_mul_f32 v[52:53], v[52:53], v[32:33] op_sel_hi:[0,1]
	v_pk_fma_f32 v[54:55], v[28:29], v[30:31], v[18:19] op_sel:[0,0,1] op_sel_hi:[1,1,0]
	v_pk_fma_f32 v[18:19], v[28:29], v[30:31], v[18:19] op_sel:[0,0,1] op_sel_hi:[0,1,0] neg_lo:[1,0,0] neg_hi:[1,0,0]
	s_waitcnt vmcnt(3)
	v_mov_b32_e32 v28, v37
	v_mov_b32_e32 v29, v36
	v_pk_mul_f32 v[26:27], v[26:27], v[36:37] op_sel_hi:[0,1]
	s_waitcnt vmcnt(2)
	v_pk_mul_f32 v[16:17], v[16:17], v[40:41] op_sel_hi:[0,1]
	v_pk_mul_f32 v[12:13], v[12:13], v[34:35] op_sel_hi:[0,1]
	v_pk_fma_f32 v[62:63], v[10:11], v[32:33], v[52:53] op_sel:[0,0,1] op_sel_hi:[1,1,0]
	v_pk_fma_f32 v[10:11], v[10:11], v[32:33], v[52:53] op_sel:[0,0,1] op_sel_hi:[0,1,0] neg_lo:[1,0,0] neg_hi:[1,0,0]
	v_mov_b32_e32 v32, v1
	v_pk_mul_f32 v[30:31], v[58:59], v[38:39] op_sel_hi:[0,1]
	v_pk_fma_f32 v[50:51], v[50:51], v[28:29], v[26:27]
	v_pk_fma_f32 v[26:27], v[56:57], v[28:29], v[26:27] op_sel_hi:[0,1,1] neg_lo:[0,0,1] neg_hi:[0,0,1]
	v_pk_fma_f32 v[28:29], v[24:25], v[40:41], v[16:17] op_sel:[0,0,1] op_sel_hi:[1,1,0]
	v_pk_fma_f32 v[16:17], v[24:25], v[40:41], v[16:17] op_sel:[0,0,1] op_sel_hi:[0,1,0] neg_lo:[1,0,0] neg_hi:[1,0,0]
	v_pk_fma_f32 v[40:41], v[20:21], v[34:35], v[12:13] op_sel:[0,0,1] op_sel_hi:[1,1,0]
	v_pk_fma_f32 v[12:13], v[20:21], v[34:35], v[12:13] op_sel:[0,0,1] op_sel_hi:[0,1,0] neg_lo:[1,0,0] neg_hi:[1,0,0]
	v_mov_b32_e32 v52, v3
	s_waitcnt vmcnt(0)
	v_pk_mul_f32 v[32:33], v[32:33], v[46:47] op_sel_hi:[0,1]
	v_pk_fma_f32 v[24:25], v[6:7], v[38:39], v[30:31] op_sel:[0,0,1] op_sel_hi:[1,1,0]
	v_pk_fma_f32 v[6:7], v[6:7], v[38:39], v[30:31] op_sel:[0,0,1] op_sel_hi:[0,1,0] neg_lo:[1,0,0] neg_hi:[1,0,0]
	v_mov_b32_e32 v29, v17
	v_mov_b32_e32 v41, v13
	;; [unrolled: 1-line block ×3, first 2 shown]
	v_pk_mul_f32 v[36:37], v[60:61], v[44:45] op_sel_hi:[0,1]
	v_pk_mul_f32 v[52:53], v[52:53], v[48:49] op_sel_hi:[0,1]
	v_pk_fma_f32 v[38:39], v[0:1], v[46:47], v[32:33] op_sel:[0,0,1] op_sel_hi:[1,1,0]
	v_pk_fma_f32 v[0:1], v[0:1], v[46:47], v[32:33] op_sel:[0,0,1] op_sel_hi:[0,1,0] neg_lo:[1,0,0] neg_hi:[1,0,0]
	v_mov_b32_e32 v51, v27
	v_mov_b32_e32 v25, v7
	v_pk_add_f32 v[12:13], v[40:41], v[28:29] neg_lo:[0,1] neg_hi:[0,1]
	v_pk_mul_f32 v[58:59], v[10:11], v[42:43] op_sel_hi:[0,1]
	v_pk_fma_f32 v[30:31], v[4:5], v[44:45], v[36:37] op_sel:[0,0,1] op_sel_hi:[1,1,0]
	v_pk_fma_f32 v[4:5], v[4:5], v[44:45], v[36:37] op_sel:[0,0,1] op_sel_hi:[0,1,0] neg_lo:[1,0,0] neg_hi:[1,0,0]
	v_pk_fma_f32 v[32:33], v[2:3], v[48:49], v[52:53] op_sel:[0,0,1] op_sel_hi:[1,1,0]
	v_pk_fma_f32 v[2:3], v[2:3], v[48:49], v[52:53] op_sel:[0,0,1] op_sel_hi:[0,1,0] neg_lo:[1,0,0] neg_hi:[1,0,0]
	v_mov_b32_e32 v55, v19
	v_mov_b32_e32 v63, v11
	;; [unrolled: 1-line block ×3, first 2 shown]
	v_pk_add_f32 v[10:11], v[28:29], v[40:41]
	v_pk_add_f32 v[18:19], v[50:51], v[24:25] neg_lo:[0,1] neg_hi:[0,1]
	v_pk_mul_f32 v[0:1], v[12:13], s[4:5] op_sel_hi:[1,0]
	v_mov_b32_e32 v31, v5
	v_mov_b32_e32 v33, v3
	v_pk_add_f32 v[16:17], v[24:25], v[50:51]
	v_pk_mul_f32 v[2:3], v[18:19], s[6:7] op_sel_hi:[1,0]
	v_pk_fma_f32 v[4:5], v[10:11], s[2:3], v[0:1] op_sel:[0,0,1] op_sel_hi:[1,0,0]
	v_pk_fma_f32 v[6:7], v[10:11], s[2:3], v[0:1] op_sel:[0,0,1] op_sel_hi:[1,0,0] neg_lo:[0,0,1] neg_hi:[0,0,1]
	v_pk_fma_f32 v[36:37], v[22:23], v[42:43], v[58:59] op_sel:[0,0,1] op_sel_hi:[1,1,0]
	v_pk_fma_f32 v[22:23], v[22:23], v[42:43], v[58:59] op_sel:[0,0,1] op_sel_hi:[0,1,0] neg_lo:[1,0,0] neg_hi:[1,0,0]
	;; [unrolled: 2-line block ×3, first 2 shown]
	v_mov_b32_e32 v42, v4
	v_mov_b32_e32 v43, v7
	;; [unrolled: 1-line block ×3, first 2 shown]
	v_pk_add_f32 v[22:23], v[54:55], v[30:31] neg_lo:[0,1] neg_hi:[0,1]
	v_pk_add_f32 v[42:43], v[14:15], v[42:43]
	v_mov_b32_e32 v44, v0
	v_mov_b32_e32 v45, v3
	v_pk_add_f32 v[20:21], v[30:31], v[54:55]
	v_pk_add_f32 v[42:43], v[42:43], v[44:45]
	v_pk_mul_f32 v[44:45], v[22:23], s[10:11] op_sel_hi:[1,0]
	v_pk_add_f32 v[34:35], v[62:63], v[36:37] neg_lo:[0,1] neg_hi:[0,1]
	v_pk_fma_f32 v[46:47], v[20:21], s[8:9], v[44:45] op_sel:[0,0,1] op_sel_hi:[1,0,0]
	v_pk_fma_f32 v[44:45], v[20:21], s[8:9], v[44:45] op_sel:[0,0,1] op_sel_hi:[1,0,0] neg_lo:[0,0,1] neg_hi:[0,0,1]
	v_mov_b32_e32 v48, v46
	v_mov_b32_e32 v49, v45
	v_pk_add_f32 v[40:41], v[14:15], v[40:41]
	v_pk_add_f32 v[26:27], v[36:37], v[62:63]
	;; [unrolled: 1-line block ×3, first 2 shown]
	v_pk_mul_f32 v[48:49], v[34:35], s[14:15] op_sel_hi:[1,0]
	v_pk_add_f32 v[40:41], v[40:41], v[50:51]
	v_pk_fma_f32 v[52:53], v[26:27], s[12:13], v[48:49] op_sel:[0,0,1] op_sel_hi:[1,0,0]
	v_pk_fma_f32 v[48:49], v[26:27], s[12:13], v[48:49] op_sel:[0,0,1] op_sel_hi:[1,0,0] neg_lo:[0,0,1] neg_hi:[0,0,1]
	v_pk_add_f32 v[40:41], v[40:41], v[54:55]
	v_mov_b32_e32 v56, v52
	v_mov_b32_e32 v57, v49
	v_pk_add_f32 v[40:41], v[40:41], v[62:63]
	v_pk_add_f32 v[42:43], v[42:43], v[56:57]
	;; [unrolled: 1-line block ×3, first 2 shown]
	v_pk_add_f32 v[58:59], v[38:39], v[32:33] neg_lo:[0,1] neg_hi:[0,1]
	v_pk_add_f32 v[38:39], v[40:41], v[38:39]
	v_pk_mul_f32 v[60:61], v[58:59], s[18:19] op_sel_hi:[1,0]
	v_pk_add_f32 v[32:33], v[32:33], v[38:39]
	v_pk_fma_f32 v[64:65], v[56:57], s[16:17], v[60:61] op_sel:[0,0,1] op_sel_hi:[1,0,0]
	v_pk_add_f32 v[32:33], v[36:37], v[32:33]
	v_pk_fma_f32 v[60:61], v[56:57], s[16:17], v[60:61] op_sel:[0,0,1] op_sel_hi:[1,0,0] neg_lo:[0,0,1] neg_hi:[0,0,1]
	v_pk_add_f32 v[30:31], v[30:31], v[32:33]
	v_mov_b32_e32 v66, v64
	v_pk_add_f32 v[24:25], v[24:25], v[30:31]
	v_mov_b32_e32 v67, v61
	v_pk_add_f32 v[24:25], v[28:29], v[24:25]
	v_pk_add_f32 v[42:43], v[42:43], v[66:67]
	global_store_dwordx2 v[8:9], v[24:25], off
	global_store_dwordx2 v[8:9], v[42:43], off offset:40
	v_pk_mul_f32 v[24:25], v[12:13], s[6:7] op_sel_hi:[1,0]
	v_pk_mul_f32 v[32:33], v[18:19], s[14:15] op_sel_hi:[1,0]
	v_pk_fma_f32 v[28:29], v[10:11], s[0:1], v[24:25] op_sel:[0,0,1] op_sel_hi:[1,0,0]
	v_pk_fma_f32 v[24:25], v[10:11], s[0:1], v[24:25] op_sel:[0,0,1] op_sel_hi:[1,0,0] neg_lo:[0,0,1] neg_hi:[0,0,1]
	v_mov_b32_e32 v30, v28
	v_mov_b32_e32 v31, v25
	v_pk_fma_f32 v[36:37], v[16:17], s[12:13], v[32:33] op_sel:[0,0,1] op_sel_hi:[1,0,0]
	v_pk_fma_f32 v[32:33], v[16:17], s[12:13], v[32:33] op_sel:[0,0,1] op_sel_hi:[1,0,0] neg_lo:[0,0,1] neg_hi:[0,0,1]
	v_pk_add_f32 v[30:31], v[14:15], v[30:31]
	v_mov_b32_e32 v38, v36
	v_mov_b32_e32 v39, v33
	s_mov_b32 s6, 0x3e903f40
	v_pk_add_f32 v[30:31], v[30:31], v[38:39]
	v_pk_mul_f32 v[38:39], v[22:23], s[6:7] op_sel_hi:[1,0]
	v_pk_mul_f32 v[70:71], v[18:19], s[6:7] op_sel_hi:[1,0]
	v_pk_fma_f32 v[40:41], v[20:21], s[16:17], v[38:39] op_sel:[0,0,1] op_sel_hi:[1,0,0]
	v_pk_fma_f32 v[38:39], v[20:21], s[16:17], v[38:39] op_sel:[0,0,1] op_sel_hi:[1,0,0] neg_lo:[0,0,1] neg_hi:[0,0,1]
	v_mov_b32_e32 v42, v40
	v_mov_b32_e32 v43, v39
	v_pk_add_f32 v[30:31], v[30:31], v[42:43]
	v_pk_mul_f32 v[42:43], v[34:35], s[20:21] op_sel_hi:[1,0]
	v_pk_fma_f32 v[72:73], v[16:17], s[16:17], v[70:71] op_sel:[0,0,1] op_sel_hi:[1,0,0]
	v_pk_fma_f32 v[50:51], v[26:27], s[8:9], v[42:43] op_sel:[0,0,1] op_sel_hi:[1,0,0]
	v_pk_fma_f32 v[42:43], v[26:27], s[8:9], v[42:43] op_sel:[0,0,1] op_sel_hi:[1,0,0] neg_lo:[0,0,1] neg_hi:[0,0,1]
	v_mov_b32_e32 v54, v50
	v_mov_b32_e32 v55, v43
	v_pk_add_f32 v[30:31], v[30:31], v[54:55]
	v_pk_mul_f32 v[54:55], v[58:59], s[22:23] op_sel_hi:[1,0]
	v_pk_fma_f32 v[70:71], v[16:17], s[16:17], v[70:71] op_sel:[0,0,1] op_sel_hi:[1,0,0] neg_lo:[0,0,1] neg_hi:[0,0,1]
	v_pk_fma_f32 v[62:63], v[56:57], s[2:3], v[54:55] op_sel:[0,0,1] op_sel_hi:[1,0,0]
	v_pk_fma_f32 v[54:55], v[56:57], s[2:3], v[54:55] op_sel:[0,0,1] op_sel_hi:[1,0,0] neg_lo:[0,0,1] neg_hi:[0,0,1]
	v_mov_b32_e32 v66, v62
	v_mov_b32_e32 v67, v55
	v_pk_add_f32 v[30:31], v[30:31], v[66:67]
	global_store_dwordx2 v[8:9], v[30:31], off offset:80
	v_pk_mul_f32 v[30:31], v[12:13], s[10:11] op_sel_hi:[1,0]
	v_mov_b32_e32 v74, v72
	v_pk_fma_f32 v[66:67], v[10:11], s[8:9], v[30:31] op_sel:[0,0,1] op_sel_hi:[1,0,0]
	v_pk_fma_f32 v[30:31], v[10:11], s[8:9], v[30:31] op_sel:[0,0,1] op_sel_hi:[1,0,0] neg_lo:[0,0,1] neg_hi:[0,0,1]
	v_mov_b32_e32 v68, v66
	v_mov_b32_e32 v69, v31
	v_pk_add_f32 v[68:69], v[14:15], v[68:69]
	v_mov_b32_e32 v75, v71
	s_mov_b32 s6, 0x3f68dda4
	v_pk_add_f32 v[68:69], v[68:69], v[74:75]
	v_pk_mul_f32 v[74:75], v[22:23], s[6:7] op_sel_hi:[1,0]
	v_pk_mul_f32 v[90:91], v[18:19], s[20:21] op_sel_hi:[1,0]
	v_pk_fma_f32 v[76:77], v[20:21], s[0:1], v[74:75] op_sel:[0,0,1] op_sel_hi:[1,0,0]
	v_pk_fma_f32 v[74:75], v[20:21], s[0:1], v[74:75] op_sel:[0,0,1] op_sel_hi:[1,0,0] neg_lo:[0,0,1] neg_hi:[0,0,1]
	v_mov_b32_e32 v78, v76
	v_mov_b32_e32 v79, v75
	v_pk_add_f32 v[68:69], v[68:69], v[78:79]
	v_pk_mul_f32 v[78:79], v[34:35], s[4:5] op_sel_hi:[1,0]
	v_pk_fma_f32 v[92:93], v[16:17], s[8:9], v[90:91] op_sel:[0,0,1] op_sel_hi:[1,0,0]
	v_pk_fma_f32 v[80:81], v[26:27], s[2:3], v[78:79] op_sel:[0,0,1] op_sel_hi:[1,0,0]
	v_pk_fma_f32 v[78:79], v[26:27], s[2:3], v[78:79] op_sel:[0,0,1] op_sel_hi:[1,0,0] neg_lo:[0,0,1] neg_hi:[0,0,1]
	v_mov_b32_e32 v82, v80
	v_mov_b32_e32 v83, v79
	v_pk_add_f32 v[68:69], v[68:69], v[82:83]
	v_pk_mul_f32 v[82:83], v[58:59], s[14:15] op_sel_hi:[1,0]
	v_pk_fma_f32 v[90:91], v[16:17], s[8:9], v[90:91] op_sel:[0,0,1] op_sel_hi:[1,0,0] neg_lo:[0,0,1] neg_hi:[0,0,1]
	v_pk_fma_f32 v[84:85], v[56:57], s[12:13], v[82:83] op_sel:[0,0,1] op_sel_hi:[1,0,0]
	v_pk_fma_f32 v[82:83], v[56:57], s[12:13], v[82:83] op_sel:[0,0,1] op_sel_hi:[1,0,0] neg_lo:[0,0,1] neg_hi:[0,0,1]
	v_mov_b32_e32 v86, v84
	v_mov_b32_e32 v87, v83
	v_pk_add_f32 v[68:69], v[68:69], v[86:87]
	global_store_dwordx2 v[8:9], v[68:69], off offset:120
	v_pk_mul_f32 v[68:69], v[12:13], s[14:15] op_sel_hi:[1,0]
	v_mov_b32_e32 v94, v92
	v_pk_fma_f32 v[86:87], v[10:11], s[12:13], v[68:69] op_sel:[0,0,1] op_sel_hi:[1,0,0]
	v_pk_fma_f32 v[68:69], v[10:11], s[12:13], v[68:69] op_sel:[0,0,1] op_sel_hi:[1,0,0] neg_lo:[0,0,1] neg_hi:[0,0,1]
	v_mov_b32_e32 v88, v86
	v_mov_b32_e32 v89, v69
	v_pk_add_f32 v[88:89], v[14:15], v[88:89]
	v_mov_b32_e32 v95, v91
	v_pk_add_f32 v[88:89], v[88:89], v[94:95]
	v_pk_mul_f32 v[94:95], v[22:23], s[4:5] op_sel_hi:[1,0]
	v_pk_mul_f32 v[12:13], v[12:13], s[18:19] op_sel_hi:[1,0]
	v_pk_fma_f32 v[96:97], v[20:21], s[2:3], v[94:95] op_sel:[0,0,1] op_sel_hi:[1,0,0]
	v_pk_fma_f32 v[94:95], v[20:21], s[2:3], v[94:95] op_sel:[0,0,1] op_sel_hi:[1,0,0] neg_lo:[0,0,1] neg_hi:[0,0,1]
	v_mov_b32_e32 v98, v96
	v_mov_b32_e32 v99, v95
	v_pk_add_f32 v[88:89], v[88:89], v[98:99]
	v_pk_mul_f32 v[98:99], v[34:35], s[18:19] op_sel_hi:[1,0]
	v_pk_mul_f32 v[22:23], v[22:23], s[14:15] op_sel_hi:[1,0]
	v_pk_fma_f32 v[100:101], v[26:27], s[16:17], v[98:99] op_sel:[0,0,1] op_sel_hi:[1,0,0]
	v_pk_fma_f32 v[98:99], v[26:27], s[16:17], v[98:99] op_sel:[0,0,1] op_sel_hi:[1,0,0] neg_lo:[0,0,1] neg_hi:[0,0,1]
	v_mov_b32_e32 v102, v100
	v_mov_b32_e32 v103, v99
	v_pk_add_f32 v[88:89], v[88:89], v[102:103]
	v_pk_mul_f32 v[102:103], v[58:59], s[6:7] op_sel_hi:[1,0]
	v_mov_b32_e32 v69, v87
	v_pk_fma_f32 v[104:105], v[56:57], s[0:1], v[102:103] op_sel:[0,0,1] op_sel_hi:[1,0,0]
	v_pk_fma_f32 v[102:103], v[56:57], s[0:1], v[102:103] op_sel:[0,0,1] op_sel_hi:[1,0,0] neg_lo:[0,0,1] neg_hi:[0,0,1]
	v_mov_b32_e32 v106, v104
	v_mov_b32_e32 v107, v103
	v_pk_add_f32 v[88:89], v[88:89], v[106:107]
	global_store_dwordx2 v[8:9], v[88:89], off offset:160
	v_pk_fma_f32 v[88:89], v[10:11], s[16:17], v[12:13] op_sel:[0,0,1] op_sel_hi:[1,0,0]
	v_pk_fma_f32 v[10:11], v[10:11], s[16:17], v[12:13] op_sel:[0,0,1] op_sel_hi:[1,0,0] neg_lo:[0,0,1] neg_hi:[0,0,1]
	v_pk_mul_f32 v[12:13], v[18:19], s[22:23] op_sel_hi:[1,0]
	v_mov_b32_e32 v91, v93
	v_pk_fma_f32 v[18:19], v[16:17], s[2:3], v[12:13] op_sel:[0,0,1] op_sel_hi:[1,0,0]
	v_pk_fma_f32 v[12:13], v[16:17], s[2:3], v[12:13] op_sel:[0,0,1] op_sel_hi:[1,0,0] neg_lo:[0,0,1] neg_hi:[0,0,1]
	v_mov_b32_e32 v16, v88
	v_mov_b32_e32 v17, v11
	v_pk_add_f32 v[16:17], v[14:15], v[16:17]
	v_mov_b32_e32 v106, v18
	v_mov_b32_e32 v107, v13
	v_pk_add_f32 v[16:17], v[16:17], v[106:107]
	v_pk_fma_f32 v[106:107], v[20:21], s[12:13], v[22:23] op_sel:[0,0,1] op_sel_hi:[1,0,0]
	v_pk_fma_f32 v[20:21], v[20:21], s[12:13], v[22:23] op_sel:[0,0,1] op_sel_hi:[1,0,0] neg_lo:[0,0,1] neg_hi:[0,0,1]
	v_mov_b32_e32 v22, v106
	v_mov_b32_e32 v23, v21
	v_pk_add_f32 v[16:17], v[16:17], v[22:23]
	v_pk_mul_f32 v[22:23], v[34:35], s[6:7] op_sel_hi:[1,0]
	v_mov_b32_e32 v11, v89
	v_pk_fma_f32 v[34:35], v[26:27], s[0:1], v[22:23] op_sel:[0,0,1] op_sel_hi:[1,0,0]
	v_pk_fma_f32 v[22:23], v[26:27], s[0:1], v[22:23] op_sel:[0,0,1] op_sel_hi:[1,0,0] neg_lo:[0,0,1] neg_hi:[0,0,1]
	v_mov_b32_e32 v26, v34
	v_mov_b32_e32 v27, v23
	;; [unrolled: 1-line block ×3, first 2 shown]
	v_pk_add_f32 v[10:11], v[14:15], v[10:11]
	v_pk_add_f32 v[16:17], v[16:17], v[26:27]
	v_pk_mul_f32 v[26:27], v[58:59], s[10:11] op_sel_hi:[1,0]
	v_pk_add_f32 v[10:11], v[10:11], v[12:13]
	v_mov_b32_e32 v21, v107
	v_pk_fma_f32 v[58:59], v[56:57], s[8:9], v[26:27] op_sel:[0,0,1] op_sel_hi:[1,0,0]
	v_pk_fma_f32 v[26:27], v[56:57], s[8:9], v[26:27] op_sel:[0,0,1] op_sel_hi:[1,0,0] neg_lo:[0,0,1] neg_hi:[0,0,1]
	v_pk_add_f32 v[10:11], v[10:11], v[20:21]
	v_mov_b32_e32 v23, v35
	v_mov_b32_e32 v57, v27
	v_pk_add_f32 v[10:11], v[10:11], v[22:23]
	v_mov_b32_e32 v27, v59
	v_pk_add_f32 v[10:11], v[10:11], v[26:27]
	global_store_dwordx2 v[8:9], v[10:11], off offset:240
	v_pk_add_f32 v[10:11], v[14:15], v[68:69]
	v_mov_b32_e32 v95, v97
	v_pk_add_f32 v[10:11], v[10:11], v[90:91]
	v_mov_b32_e32 v99, v101
	;; [unrolled: 2-line block ×4, first 2 shown]
	v_pk_add_f32 v[10:11], v[10:11], v[102:103]
	global_store_dwordx2 v[8:9], v[10:11], off offset:280
	v_mov_b32_e32 v71, v73
	v_pk_add_f32 v[10:11], v[14:15], v[30:31]
	v_mov_b32_e32 v75, v77
	v_pk_add_f32 v[10:11], v[10:11], v[70:71]
	;; [unrolled: 2-line block ×5, first 2 shown]
	v_mov_b32_e32 v7, v5
	global_store_dwordx2 v[8:9], v[10:11], off offset:320
	v_pk_add_f32 v[10:11], v[14:15], v[24:25]
	v_mov_b32_e32 v33, v37
	v_pk_add_f32 v[4:5], v[14:15], v[6:7]
	v_mov_b32_e32 v3, v1
	;; [unrolled: 2-line block ×6, first 2 shown]
	v_mov_b32_e32 v56, v58
	v_pk_add_f32 v[10:11], v[10:11], v[42:43]
	v_mov_b32_e32 v55, v63
	v_pk_add_f32 v[0:1], v[0:1], v[48:49]
	v_mov_b32_e32 v61, v65
	v_pk_add_f32 v[16:17], v[16:17], v[56:57]
	v_pk_add_f32 v[10:11], v[10:11], v[54:55]
	v_pk_add_f32 v[0:1], v[0:1], v[60:61]
	global_store_dwordx2 v[8:9], v[16:17], off offset:200
	global_store_dwordx2 v[8:9], v[10:11], off offset:360
	;; [unrolled: 1-line block ×3, first 2 shown]
.LBB0_16:
	s_endpgm
	.section	.rodata,"a",@progbits
	.p2align	6, 0x0
	.amdhsa_kernel fft_rtc_back_len55_factors_5_11_wgs_253_tpt_11_sp_op_CI_CI_unitstride_sbrr_dirReg
		.amdhsa_group_segment_fixed_size 0
		.amdhsa_private_segment_fixed_size 0
		.amdhsa_kernarg_size 104
		.amdhsa_user_sgpr_count 2
		.amdhsa_user_sgpr_dispatch_ptr 0
		.amdhsa_user_sgpr_queue_ptr 0
		.amdhsa_user_sgpr_kernarg_segment_ptr 1
		.amdhsa_user_sgpr_dispatch_id 0
		.amdhsa_user_sgpr_kernarg_preload_length 0
		.amdhsa_user_sgpr_kernarg_preload_offset 0
		.amdhsa_user_sgpr_private_segment_size 0
		.amdhsa_uses_dynamic_stack 0
		.amdhsa_enable_private_segment 0
		.amdhsa_system_sgpr_workgroup_id_x 1
		.amdhsa_system_sgpr_workgroup_id_y 0
		.amdhsa_system_sgpr_workgroup_id_z 0
		.amdhsa_system_sgpr_workgroup_info 0
		.amdhsa_system_vgpr_workitem_id 0
		.amdhsa_next_free_vgpr 108
		.amdhsa_next_free_sgpr 28
		.amdhsa_accum_offset 108
		.amdhsa_reserve_vcc 1
		.amdhsa_float_round_mode_32 0
		.amdhsa_float_round_mode_16_64 0
		.amdhsa_float_denorm_mode_32 3
		.amdhsa_float_denorm_mode_16_64 3
		.amdhsa_dx10_clamp 1
		.amdhsa_ieee_mode 1
		.amdhsa_fp16_overflow 0
		.amdhsa_tg_split 0
		.amdhsa_exception_fp_ieee_invalid_op 0
		.amdhsa_exception_fp_denorm_src 0
		.amdhsa_exception_fp_ieee_div_zero 0
		.amdhsa_exception_fp_ieee_overflow 0
		.amdhsa_exception_fp_ieee_underflow 0
		.amdhsa_exception_fp_ieee_inexact 0
		.amdhsa_exception_int_div_zero 0
	.end_amdhsa_kernel
	.text
.Lfunc_end0:
	.size	fft_rtc_back_len55_factors_5_11_wgs_253_tpt_11_sp_op_CI_CI_unitstride_sbrr_dirReg, .Lfunc_end0-fft_rtc_back_len55_factors_5_11_wgs_253_tpt_11_sp_op_CI_CI_unitstride_sbrr_dirReg
                                        ; -- End function
	.section	.AMDGPU.csdata,"",@progbits
; Kernel info:
; codeLenInByte = 4252
; NumSgprs: 34
; NumVgprs: 108
; NumAgprs: 0
; TotalNumVgprs: 108
; ScratchSize: 0
; MemoryBound: 0
; FloatMode: 240
; IeeeMode: 1
; LDSByteSize: 0 bytes/workgroup (compile time only)
; SGPRBlocks: 4
; VGPRBlocks: 13
; NumSGPRsForWavesPerEU: 34
; NumVGPRsForWavesPerEU: 108
; AccumOffset: 108
; Occupancy: 4
; WaveLimiterHint : 1
; COMPUTE_PGM_RSRC2:SCRATCH_EN: 0
; COMPUTE_PGM_RSRC2:USER_SGPR: 2
; COMPUTE_PGM_RSRC2:TRAP_HANDLER: 0
; COMPUTE_PGM_RSRC2:TGID_X_EN: 1
; COMPUTE_PGM_RSRC2:TGID_Y_EN: 0
; COMPUTE_PGM_RSRC2:TGID_Z_EN: 0
; COMPUTE_PGM_RSRC2:TIDIG_COMP_CNT: 0
; COMPUTE_PGM_RSRC3_GFX90A:ACCUM_OFFSET: 26
; COMPUTE_PGM_RSRC3_GFX90A:TG_SPLIT: 0
	.text
	.p2alignl 6, 3212836864
	.fill 256, 4, 3212836864
	.type	__hip_cuid_a6b8e1492e4d7e8c,@object ; @__hip_cuid_a6b8e1492e4d7e8c
	.section	.bss,"aw",@nobits
	.globl	__hip_cuid_a6b8e1492e4d7e8c
__hip_cuid_a6b8e1492e4d7e8c:
	.byte	0                               ; 0x0
	.size	__hip_cuid_a6b8e1492e4d7e8c, 1

	.ident	"AMD clang version 19.0.0git (https://github.com/RadeonOpenCompute/llvm-project roc-6.4.0 25133 c7fe45cf4b819c5991fe208aaa96edf142730f1d)"
	.section	".note.GNU-stack","",@progbits
	.addrsig
	.addrsig_sym __hip_cuid_a6b8e1492e4d7e8c
	.amdgpu_metadata
---
amdhsa.kernels:
  - .agpr_count:     0
    .args:
      - .actual_access:  read_only
        .address_space:  global
        .offset:         0
        .size:           8
        .value_kind:     global_buffer
      - .offset:         8
        .size:           8
        .value_kind:     by_value
      - .actual_access:  read_only
        .address_space:  global
        .offset:         16
        .size:           8
        .value_kind:     global_buffer
      - .actual_access:  read_only
        .address_space:  global
        .offset:         24
        .size:           8
        .value_kind:     global_buffer
      - .actual_access:  read_only
        .address_space:  global
        .offset:         32
        .size:           8
        .value_kind:     global_buffer
      - .offset:         40
        .size:           8
        .value_kind:     by_value
      - .actual_access:  read_only
        .address_space:  global
        .offset:         48
        .size:           8
        .value_kind:     global_buffer
      - .actual_access:  read_only
        .address_space:  global
        .offset:         56
        .size:           8
        .value_kind:     global_buffer
      - .offset:         64
        .size:           4
        .value_kind:     by_value
      - .actual_access:  read_only
        .address_space:  global
        .offset:         72
        .size:           8
        .value_kind:     global_buffer
      - .actual_access:  read_only
        .address_space:  global
        .offset:         80
        .size:           8
        .value_kind:     global_buffer
      - .actual_access:  read_only
        .address_space:  global
        .offset:         88
        .size:           8
        .value_kind:     global_buffer
      - .actual_access:  write_only
        .address_space:  global
        .offset:         96
        .size:           8
        .value_kind:     global_buffer
    .group_segment_fixed_size: 0
    .kernarg_segment_align: 8
    .kernarg_segment_size: 104
    .language:       OpenCL C
    .language_version:
      - 2
      - 0
    .max_flat_workgroup_size: 253
    .name:           fft_rtc_back_len55_factors_5_11_wgs_253_tpt_11_sp_op_CI_CI_unitstride_sbrr_dirReg
    .private_segment_fixed_size: 0
    .sgpr_count:     34
    .sgpr_spill_count: 0
    .symbol:         fft_rtc_back_len55_factors_5_11_wgs_253_tpt_11_sp_op_CI_CI_unitstride_sbrr_dirReg.kd
    .uniform_work_group_size: 1
    .uses_dynamic_stack: false
    .vgpr_count:     108
    .vgpr_spill_count: 0
    .wavefront_size: 64
amdhsa.target:   amdgcn-amd-amdhsa--gfx950
amdhsa.version:
  - 1
  - 2
...

	.end_amdgpu_metadata
